;; amdgpu-corpus repo=ROCm/rocFFT kind=compiled arch=gfx1030 opt=O3
	.text
	.amdgcn_target "amdgcn-amd-amdhsa--gfx1030"
	.amdhsa_code_object_version 6
	.protected	fft_rtc_back_len1040_factors_13_16_5_wgs_208_tpt_208_halfLds_sp_op_CI_CI_sbrr_dirReg ; -- Begin function fft_rtc_back_len1040_factors_13_16_5_wgs_208_tpt_208_halfLds_sp_op_CI_CI_sbrr_dirReg
	.globl	fft_rtc_back_len1040_factors_13_16_5_wgs_208_tpt_208_halfLds_sp_op_CI_CI_sbrr_dirReg
	.p2align	8
	.type	fft_rtc_back_len1040_factors_13_16_5_wgs_208_tpt_208_halfLds_sp_op_CI_CI_sbrr_dirReg,@function
fft_rtc_back_len1040_factors_13_16_5_wgs_208_tpt_208_halfLds_sp_op_CI_CI_sbrr_dirReg: ; @fft_rtc_back_len1040_factors_13_16_5_wgs_208_tpt_208_halfLds_sp_op_CI_CI_sbrr_dirReg
; %bb.0:
	s_clause 0x2
	s_load_dwordx4 s[16:19], s[4:5], 0x18
	s_load_dwordx4 s[12:15], s[4:5], 0x0
	;; [unrolled: 1-line block ×3, first 2 shown]
	v_mul_u32_u24_e32 v2, 0x13c, v0
	v_mov_b32_e32 v1, 0
	v_mov_b32_e32 v8, 0
	;; [unrolled: 1-line block ×3, first 2 shown]
	s_waitcnt lgkmcnt(0)
	s_load_dwordx2 s[20:21], s[16:17], 0x0
	s_load_dwordx2 s[2:3], s[18:19], 0x0
	v_cmp_lt_u64_e64 s0, s[14:15], 2
	v_add_nc_u32_sdwa v10, s6, v2 dst_sel:DWORD dst_unused:UNUSED_PAD src0_sel:DWORD src1_sel:WORD_1
	v_mov_b32_e32 v11, v1
	s_and_b32 vcc_lo, exec_lo, s0
	s_cbranch_vccnz .LBB0_8
; %bb.1:
	s_load_dwordx2 s[0:1], s[4:5], 0x10
	v_mov_b32_e32 v8, 0
	v_mov_b32_e32 v9, 0
	s_add_u32 s6, s18, 8
	s_addc_u32 s7, s19, 0
	v_mov_b32_e32 v4, v8
	s_add_u32 s22, s16, 8
	v_mov_b32_e32 v5, v9
	s_addc_u32 s23, s17, 0
	s_mov_b64 s[26:27], 1
	s_waitcnt lgkmcnt(0)
	s_add_u32 s24, s0, 8
	s_addc_u32 s25, s1, 0
.LBB0_2:                                ; =>This Inner Loop Header: Depth=1
	s_load_dwordx2 s[28:29], s[24:25], 0x0
                                        ; implicit-def: $vgpr6_vgpr7
	s_mov_b32 s0, exec_lo
	s_waitcnt lgkmcnt(0)
	v_or_b32_e32 v2, s29, v11
	v_cmpx_ne_u64_e32 0, v[1:2]
	s_xor_b32 s1, exec_lo, s0
	s_cbranch_execz .LBB0_4
; %bb.3:                                ;   in Loop: Header=BB0_2 Depth=1
	v_cvt_f32_u32_e32 v2, s28
	v_cvt_f32_u32_e32 v3, s29
	s_sub_u32 s0, 0, s28
	s_subb_u32 s30, 0, s29
	v_fmac_f32_e32 v2, 0x4f800000, v3
	v_rcp_f32_e32 v2, v2
	v_mul_f32_e32 v2, 0x5f7ffffc, v2
	v_mul_f32_e32 v3, 0x2f800000, v2
	v_trunc_f32_e32 v3, v3
	v_fmac_f32_e32 v2, 0xcf800000, v3
	v_cvt_u32_f32_e32 v3, v3
	v_cvt_u32_f32_e32 v2, v2
	v_mul_lo_u32 v6, s0, v3
	v_mul_hi_u32 v7, s0, v2
	v_mul_lo_u32 v12, s30, v2
	v_add_nc_u32_e32 v6, v7, v6
	v_mul_lo_u32 v7, s0, v2
	v_add_nc_u32_e32 v6, v6, v12
	v_mul_hi_u32 v12, v2, v7
	v_mul_lo_u32 v13, v2, v6
	v_mul_hi_u32 v14, v2, v6
	v_mul_hi_u32 v15, v3, v7
	v_mul_lo_u32 v7, v3, v7
	v_mul_hi_u32 v16, v3, v6
	v_mul_lo_u32 v6, v3, v6
	v_add_co_u32 v12, vcc_lo, v12, v13
	v_add_co_ci_u32_e32 v13, vcc_lo, 0, v14, vcc_lo
	v_add_co_u32 v7, vcc_lo, v12, v7
	v_add_co_ci_u32_e32 v7, vcc_lo, v13, v15, vcc_lo
	v_add_co_ci_u32_e32 v12, vcc_lo, 0, v16, vcc_lo
	v_add_co_u32 v6, vcc_lo, v7, v6
	v_add_co_ci_u32_e32 v7, vcc_lo, 0, v12, vcc_lo
	v_add_co_u32 v2, vcc_lo, v2, v6
	v_add_co_ci_u32_e32 v3, vcc_lo, v3, v7, vcc_lo
	v_mul_hi_u32 v6, s0, v2
	v_mul_lo_u32 v12, s30, v2
	v_mul_lo_u32 v7, s0, v3
	v_add_nc_u32_e32 v6, v6, v7
	v_mul_lo_u32 v7, s0, v2
	v_add_nc_u32_e32 v6, v6, v12
	v_mul_hi_u32 v12, v2, v7
	v_mul_lo_u32 v13, v2, v6
	v_mul_hi_u32 v14, v2, v6
	v_mul_hi_u32 v15, v3, v7
	v_mul_lo_u32 v7, v3, v7
	v_mul_hi_u32 v16, v3, v6
	v_mul_lo_u32 v6, v3, v6
	v_add_co_u32 v12, vcc_lo, v12, v13
	v_add_co_ci_u32_e32 v13, vcc_lo, 0, v14, vcc_lo
	v_add_co_u32 v7, vcc_lo, v12, v7
	v_add_co_ci_u32_e32 v7, vcc_lo, v13, v15, vcc_lo
	v_add_co_ci_u32_e32 v12, vcc_lo, 0, v16, vcc_lo
	v_add_co_u32 v6, vcc_lo, v7, v6
	v_add_co_ci_u32_e32 v7, vcc_lo, 0, v12, vcc_lo
	v_add_co_u32 v6, vcc_lo, v2, v6
	v_add_co_ci_u32_e32 v12, vcc_lo, v3, v7, vcc_lo
	v_mul_hi_u32 v14, v10, v6
	v_mad_u64_u32 v[6:7], null, v11, v6, 0
	v_mad_u64_u32 v[2:3], null, v10, v12, 0
	v_mad_u64_u32 v[12:13], null, v11, v12, 0
	v_add_co_u32 v2, vcc_lo, v14, v2
	v_add_co_ci_u32_e32 v3, vcc_lo, 0, v3, vcc_lo
	v_add_co_u32 v2, vcc_lo, v2, v6
	v_add_co_ci_u32_e32 v2, vcc_lo, v3, v7, vcc_lo
	v_add_co_ci_u32_e32 v3, vcc_lo, 0, v13, vcc_lo
	v_add_co_u32 v6, vcc_lo, v2, v12
	v_add_co_ci_u32_e32 v7, vcc_lo, 0, v3, vcc_lo
	v_mul_lo_u32 v12, s29, v6
	v_mad_u64_u32 v[2:3], null, s28, v6, 0
	v_mul_lo_u32 v13, s28, v7
	v_sub_co_u32 v2, vcc_lo, v10, v2
	v_add3_u32 v3, v3, v13, v12
	v_sub_nc_u32_e32 v12, v11, v3
	v_subrev_co_ci_u32_e64 v12, s0, s29, v12, vcc_lo
	v_add_co_u32 v13, s0, v6, 2
	v_add_co_ci_u32_e64 v14, s0, 0, v7, s0
	v_sub_co_u32 v15, s0, v2, s28
	v_sub_co_ci_u32_e32 v3, vcc_lo, v11, v3, vcc_lo
	v_subrev_co_ci_u32_e64 v12, s0, 0, v12, s0
	v_cmp_le_u32_e32 vcc_lo, s28, v15
	v_cmp_eq_u32_e64 s0, s29, v3
	v_cndmask_b32_e64 v15, 0, -1, vcc_lo
	v_cmp_le_u32_e32 vcc_lo, s29, v12
	v_cndmask_b32_e64 v16, 0, -1, vcc_lo
	v_cmp_le_u32_e32 vcc_lo, s28, v2
	;; [unrolled: 2-line block ×3, first 2 shown]
	v_cndmask_b32_e64 v17, 0, -1, vcc_lo
	v_cmp_eq_u32_e32 vcc_lo, s29, v12
	v_cndmask_b32_e64 v2, v17, v2, s0
	v_cndmask_b32_e32 v12, v16, v15, vcc_lo
	v_add_co_u32 v15, vcc_lo, v6, 1
	v_add_co_ci_u32_e32 v16, vcc_lo, 0, v7, vcc_lo
	v_cmp_ne_u32_e32 vcc_lo, 0, v12
	v_cndmask_b32_e32 v3, v16, v14, vcc_lo
	v_cndmask_b32_e32 v12, v15, v13, vcc_lo
	v_cmp_ne_u32_e32 vcc_lo, 0, v2
	v_cndmask_b32_e32 v7, v7, v3, vcc_lo
	v_cndmask_b32_e32 v6, v6, v12, vcc_lo
.LBB0_4:                                ;   in Loop: Header=BB0_2 Depth=1
	s_andn2_saveexec_b32 s0, s1
	s_cbranch_execz .LBB0_6
; %bb.5:                                ;   in Loop: Header=BB0_2 Depth=1
	v_cvt_f32_u32_e32 v2, s28
	s_sub_i32 s1, 0, s28
	v_rcp_iflag_f32_e32 v2, v2
	v_mul_f32_e32 v2, 0x4f7ffffe, v2
	v_cvt_u32_f32_e32 v2, v2
	v_mul_lo_u32 v3, s1, v2
	v_mul_hi_u32 v3, v2, v3
	v_add_nc_u32_e32 v2, v2, v3
	v_mul_hi_u32 v2, v10, v2
	v_mul_lo_u32 v3, v2, s28
	v_add_nc_u32_e32 v6, 1, v2
	v_sub_nc_u32_e32 v3, v10, v3
	v_subrev_nc_u32_e32 v7, s28, v3
	v_cmp_le_u32_e32 vcc_lo, s28, v3
	v_cndmask_b32_e32 v3, v3, v7, vcc_lo
	v_cndmask_b32_e32 v2, v2, v6, vcc_lo
	v_mov_b32_e32 v7, v1
	v_cmp_le_u32_e32 vcc_lo, s28, v3
	v_add_nc_u32_e32 v6, 1, v2
	v_cndmask_b32_e32 v6, v2, v6, vcc_lo
.LBB0_6:                                ;   in Loop: Header=BB0_2 Depth=1
	s_or_b32 exec_lo, exec_lo, s0
	v_mul_lo_u32 v12, v7, s28
	v_mul_lo_u32 v13, v6, s29
	s_load_dwordx2 s[0:1], s[22:23], 0x0
	v_mad_u64_u32 v[2:3], null, v6, s28, 0
	s_load_dwordx2 s[28:29], s[6:7], 0x0
	s_add_u32 s26, s26, 1
	s_addc_u32 s27, s27, 0
	s_add_u32 s6, s6, 8
	s_addc_u32 s7, s7, 0
	s_add_u32 s22, s22, 8
	v_add3_u32 v3, v3, v13, v12
	v_sub_co_u32 v2, vcc_lo, v10, v2
	s_addc_u32 s23, s23, 0
	s_add_u32 s24, s24, 8
	v_sub_co_ci_u32_e32 v3, vcc_lo, v11, v3, vcc_lo
	s_addc_u32 s25, s25, 0
	s_waitcnt lgkmcnt(0)
	v_mul_lo_u32 v10, s0, v3
	v_mul_lo_u32 v11, s1, v2
	v_mad_u64_u32 v[8:9], null, s0, v2, v[8:9]
	v_mul_lo_u32 v3, s28, v3
	v_mul_lo_u32 v12, s29, v2
	v_mad_u64_u32 v[4:5], null, s28, v2, v[4:5]
	v_cmp_ge_u64_e64 s0, s[26:27], s[14:15]
	v_add3_u32 v9, v11, v9, v10
	v_add3_u32 v5, v12, v5, v3
	s_and_b32 vcc_lo, exec_lo, s0
	s_cbranch_vccnz .LBB0_9
; %bb.7:                                ;   in Loop: Header=BB0_2 Depth=1
	v_mov_b32_e32 v11, v7
	v_mov_b32_e32 v10, v6
	s_branch .LBB0_2
.LBB0_8:
	v_mov_b32_e32 v4, v8
	v_mov_b32_e32 v6, v10
	;; [unrolled: 1-line block ×4, first 2 shown]
.LBB0_9:
	s_load_dwordx2 s[0:1], s[4:5], 0x28
	s_lshl_b64 s[6:7], s[14:15], 3
	v_mul_hi_u32 v1, 0x13b13b2, v0
	s_add_u32 s4, s18, s6
	s_addc_u32 s5, s19, s7
	v_mov_b32_e32 v15, 0
	s_load_dwordx2 s[4:5], s[4:5], 0x0
	v_mov_b32_e32 v47, 0
	v_mov_b32_e32 v14, 0
                                        ; implicit-def: $vgpr27
                                        ; implicit-def: $vgpr25
                                        ; implicit-def: $vgpr17
                                        ; implicit-def: $vgpr21
                                        ; implicit-def: $vgpr13
                                        ; implicit-def: $vgpr3
                                        ; implicit-def: $vgpr19
                                        ; implicit-def: $vgpr23
                                        ; implicit-def: $vgpr29
                                        ; implicit-def: $vgpr37
                                        ; implicit-def: $vgpr35
	v_mul_u32_u24_e32 v1, 0xd0, v1
	v_sub_nc_u32_e32 v46, v0, v1
                                        ; implicit-def: $vgpr1
	s_waitcnt lgkmcnt(0)
	v_cmp_gt_u64_e32 vcc_lo, s[0:1], v[6:7]
	s_and_saveexec_b32 s1, vcc_lo
	s_cbranch_execz .LBB0_13
; %bb.10:
	v_mov_b32_e32 v14, 0
	v_mov_b32_e32 v15, 0
	s_mov_b32 s14, exec_lo
                                        ; implicit-def: $vgpr34
                                        ; implicit-def: $vgpr36
                                        ; implicit-def: $vgpr28
                                        ; implicit-def: $vgpr22
                                        ; implicit-def: $vgpr18
                                        ; implicit-def: $vgpr2
                                        ; implicit-def: $vgpr0
                                        ; implicit-def: $vgpr12
                                        ; implicit-def: $vgpr20
                                        ; implicit-def: $vgpr16
                                        ; implicit-def: $vgpr24
                                        ; implicit-def: $vgpr26
	v_cmpx_gt_u32_e32 0x50, v46
	s_cbranch_execz .LBB0_12
; %bb.11:
	s_add_u32 s6, s16, s6
	s_addc_u32 s7, s17, s7
	v_add_nc_u32_e32 v20, 0x50, v46
	s_load_dwordx2 s[6:7], s[6:7], 0x0
	v_add_nc_u32_e32 v22, 0xa0, v46
	v_mad_u64_u32 v[0:1], null, s20, v46, 0
	v_lshlrev_b64 v[2:3], 3, v[8:9]
	v_add_nc_u32_e32 v23, 0xf0, v46
	v_mad_u64_u32 v[8:9], null, s20, v20, 0
	v_mad_u64_u32 v[10:11], null, s20, v22, 0
	;; [unrolled: 1-line block ×4, first 2 shown]
	v_mov_b32_e32 v1, v9
	v_add_nc_u32_e32 v24, 0x140, v46
	v_mov_b32_e32 v9, v11
	v_add_nc_u32_e32 v28, 0x1e0, v46
	v_mov_b32_e32 v11, v13
	v_or_b32_e32 v30, 0x280, v46
	s_waitcnt lgkmcnt(0)
	v_mul_lo_u32 v21, s7, v6
	v_mul_lo_u32 v25, s6, v7
	v_mad_u64_u32 v[14:15], null, s6, v6, 0
	v_mad_u64_u32 v[18:19], null, s20, v24, 0
	v_add_nc_u32_e32 v40, 0x370, v46
	v_add_nc_u32_e32 v41, 0x3c0, v46
	v_add3_u32 v15, v15, v25, v21
	v_mad_u64_u32 v[20:21], null, s21, v20, v[1:2]
	v_mov_b32_e32 v1, v16
	v_mad_u64_u32 v[16:17], null, s21, v22, v[9:10]
	v_lshlrev_b64 v[13:14], 3, v[14:15]
	v_mad_u64_u32 v[21:22], null, s21, v23, v[11:12]
	v_mov_b32_e32 v9, v20
	v_lshlrev_b64 v[0:1], 3, v[0:1]
	v_add_nc_u32_e32 v15, 0x190, v46
	v_add_co_u32 v13, s0, s8, v13
	v_add_co_ci_u32_e64 v14, s0, s9, v14, s0
	v_mov_b32_e32 v11, v16
	v_add_co_u32 v38, s0, v13, v2
	v_add_co_ci_u32_e64 v39, s0, v14, v3, s0
	v_lshlrev_b64 v[2:3], 3, v[8:9]
	v_mov_b32_e32 v13, v21
	v_add_co_u32 v0, s0, v38, v0
	v_lshlrev_b64 v[9:10], 3, v[10:11]
	v_mov_b32_e32 v8, v19
	v_add_co_ci_u32_e64 v1, s0, v39, v1, s0
	v_add_co_u32 v2, s0, v38, v2
	v_lshlrev_b64 v[11:12], 3, v[12:13]
	v_mad_u64_u32 v[20:21], null, s20, v15, 0
	v_add_co_ci_u32_e64 v3, s0, v39, v3, s0
	v_mad_u64_u32 v[13:14], null, s21, v24, v[8:9]
	v_add_co_u32 v8, s0, v38, v9
	v_add_co_ci_u32_e64 v9, s0, v39, v10, s0
	v_add_co_u32 v10, s0, v38, v11
	v_add_co_ci_u32_e64 v11, s0, v39, v12, s0
	v_mov_b32_e32 v12, v21
	v_mad_u64_u32 v[22:23], null, s20, v28, 0
	v_mov_b32_e32 v19, v13
	v_mad_u64_u32 v[12:13], null, s21, v15, v[12:13]
	v_add_nc_u32_e32 v13, 0x230, v46
	s_clause 0x3
	global_load_dwordx2 v[14:15], v[0:1], off
	global_load_dwordx2 v[26:27], v[2:3], off
	;; [unrolled: 1-line block ×4, first 2 shown]
	v_mov_b32_e32 v2, v23
	v_lshlrev_b64 v[0:1], 3, v[18:19]
	v_mad_u64_u32 v[18:19], null, s20, v30, 0
	v_mad_u64_u32 v[8:9], null, s20, v13, 0
	v_mov_b32_e32 v21, v12
	v_mad_u64_u32 v[2:3], null, s21, v28, v[2:3]
	v_add_co_u32 v0, s0, v38, v0
	v_add_co_ci_u32_e64 v1, s0, v39, v1, s0
	v_mov_b32_e32 v3, v9
	v_lshlrev_b64 v[9:10], 3, v[20:21]
	v_mov_b32_e32 v23, v2
	v_mad_u64_u32 v[2:3], null, s21, v13, v[3:4]
	v_add_co_u32 v11, s0, v38, v9
	v_add_co_ci_u32_e64 v12, s0, v39, v10, s0
	v_add_nc_u32_e32 v10, 0x2d0, v46
	v_lshlrev_b64 v[20:21], 3, v[22:23]
	v_mov_b32_e32 v9, v2
	v_mov_b32_e32 v2, v19
	v_add_nc_u32_e32 v13, 0x320, v46
	v_mad_u64_u32 v[22:23], null, s20, v10, 0
	v_lshlrev_b64 v[8:9], 3, v[8:9]
	v_mad_u64_u32 v[2:3], null, s21, v30, v[2:3]
	v_mad_u64_u32 v[30:31], null, s20, v13, 0
	v_add_co_u32 v28, s0, v38, v20
	v_mov_b32_e32 v3, v23
	v_add_co_ci_u32_e64 v29, s0, v39, v21, s0
	v_mov_b32_e32 v19, v2
	v_mov_b32_e32 v2, v31
	v_mad_u64_u32 v[32:33], null, s21, v10, v[3:4]
	v_mad_u64_u32 v[33:34], null, s20, v40, 0
	v_add_co_u32 v8, s0, v38, v8
	v_mad_u64_u32 v[35:36], null, s21, v13, v[2:3]
	v_add_co_ci_u32_e64 v9, s0, v39, v9, s0
	v_mad_u64_u32 v[36:37], null, s20, v41, 0
	s_clause 0x3
	global_load_dwordx2 v[20:21], v[0:1], off
	global_load_dwordx2 v[12:13], v[11:12], off
	;; [unrolled: 1-line block ×4, first 2 shown]
	v_lshlrev_b64 v[9:10], 3, v[18:19]
	v_mov_b32_e32 v8, v34
	v_mov_b32_e32 v23, v32
	;; [unrolled: 1-line block ×3, first 2 shown]
	v_mad_u64_u32 v[18:19], null, s21, v40, v[8:9]
	v_mov_b32_e32 v8, v37
	v_add_co_u32 v9, s0, v38, v9
	v_lshlrev_b64 v[22:23], 3, v[22:23]
	v_add_co_ci_u32_e64 v10, s0, v39, v10, s0
	v_mad_u64_u32 v[28:29], null, s21, v41, v[8:9]
	v_lshlrev_b64 v[29:30], 3, v[30:31]
	v_mov_b32_e32 v34, v18
	v_add_co_u32 v22, s0, v38, v22
	v_add_co_ci_u32_e64 v23, s0, v39, v23, s0
	v_mov_b32_e32 v37, v28
	v_lshlrev_b64 v[18:19], 3, v[33:34]
	v_add_co_u32 v28, s0, v38, v29
	v_add_co_ci_u32_e64 v29, s0, v39, v30, s0
	v_lshlrev_b64 v[30:31], 3, v[36:37]
	v_add_co_u32 v32, s0, v38, v18
	v_add_co_ci_u32_e64 v33, s0, v39, v19, s0
	v_add_co_u32 v30, s0, v38, v30
	v_add_co_ci_u32_e64 v31, s0, v39, v31, s0
	s_clause 0x4
	global_load_dwordx2 v[18:19], v[9:10], off
	global_load_dwordx2 v[22:23], v[22:23], off
	;; [unrolled: 1-line block ×5, first 2 shown]
.LBB0_12:
	s_or_b32 exec_lo, exec_lo, s14
	v_mov_b32_e32 v47, v46
.LBB0_13:
	s_or_b32 exec_lo, exec_lo, s1
	s_waitcnt vmcnt(0)
	v_sub_f32_e32 v9, v27, v35
	v_add_f32_e32 v10, v26, v34
	v_sub_f32_e32 v30, v25, v37
	v_add_f32_e32 v11, v24, v36
	v_add_f32_e32 v8, v14, v26
	v_mul_f32_e32 v31, 0xbeedf032, v9
	v_mul_f32_e32 v32, 0xbf52af12, v9
	;; [unrolled: 1-line block ×8, first 2 shown]
	v_fmamk_f32 v44, v10, 0x3f62ad3f, v31
	v_fma_f32 v31, 0x3f62ad3f, v10, -v31
	v_fmamk_f32 v45, v10, 0x3f116cb1, v32
	v_fma_f32 v32, 0x3f116cb1, v10, -v32
	v_mul_f32_e32 v42, 0xbe750f2a, v30
	v_mul_f32_e32 v43, 0x3f29c268, v30
	v_fmamk_f32 v48, v10, 0x3df6dbef, v33
	v_fma_f32 v33, 0x3df6dbef, v10, -v33
	v_fmamk_f32 v49, v10, 0xbeb58ec6, v38
	v_fma_f32 v38, 0xbeb58ec6, v10, -v38
	v_fmamk_f32 v50, v10, 0xbf3f9e67, v39
	v_fma_f32 v39, 0xbf3f9e67, v10, -v39
	v_fmamk_f32 v51, v10, 0xbf788fa5, v9
	v_fma_f32 v9, 0xbf788fa5, v10, -v9
	v_fmamk_f32 v10, v11, 0x3f116cb1, v40
	v_fma_f32 v40, 0x3f116cb1, v11, -v40
	v_fmamk_f32 v52, v11, 0xbeb58ec6, v41
	v_fma_f32 v41, 0xbeb58ec6, v11, -v41
	v_add_f32_e32 v31, v14, v31
	v_add_f32_e32 v32, v14, v32
	;; [unrolled: 1-line block ×13, first 2 shown]
	v_fmamk_f32 v40, v11, 0xbf788fa5, v42
	v_add_f32_e32 v32, v41, v32
	v_fma_f32 v41, 0xbf788fa5, v11, -v42
	v_fmamk_f32 v42, v11, 0xbf3f9e67, v43
	v_add_f32_e32 v10, v10, v44
	v_fma_f32 v43, 0xbf3f9e67, v11, -v43
	v_mul_f32_e32 v44, 0x3f7e222b, v30
	v_add_f32_e32 v33, v41, v33
	v_add_f32_e32 v41, v42, v49
	v_sub_f32_e32 v42, v17, v29
	v_mul_f32_e32 v30, 0x3eedf032, v30
	v_add_f32_e32 v31, v52, v45
	v_add_f32_e32 v40, v40, v48
	;; [unrolled: 1-line block ×3, first 2 shown]
	v_fmamk_f32 v43, v11, 0x3df6dbef, v44
	v_fma_f32 v44, 0x3df6dbef, v11, -v44
	v_add_f32_e32 v45, v16, v28
	v_mul_f32_e32 v48, 0xbf7e222b, v42
	v_fmamk_f32 v49, v11, 0x3f62ad3f, v30
	v_fma_f32 v11, 0x3f62ad3f, v11, -v30
	v_add_f32_e32 v30, v44, v39
	v_mul_f32_e32 v44, 0xbe750f2a, v42
	v_fmamk_f32 v39, v45, 0x3df6dbef, v48
	v_add_f32_e32 v43, v43, v50
	v_add_f32_e32 v9, v11, v9
	v_fma_f32 v11, 0x3df6dbef, v45, -v48
	v_mul_f32_e32 v48, 0x3f6f5d39, v42
	v_add_f32_e32 v10, v39, v10
	v_fmamk_f32 v39, v45, 0xbf788fa5, v44
	v_fma_f32 v44, 0xbf788fa5, v45, -v44
	v_add_f32_e32 v11, v11, v14
	v_mul_f32_e32 v14, 0x3eedf032, v42
	v_add_f32_e32 v49, v49, v51
	v_add_f32_e32 v31, v39, v31
	v_fmamk_f32 v39, v45, 0xbeb58ec6, v48
	v_add_f32_e32 v32, v44, v32
	v_fma_f32 v44, 0xbeb58ec6, v45, -v48
	v_fmamk_f32 v48, v45, 0x3f62ad3f, v14
	v_fma_f32 v14, 0x3f62ad3f, v45, -v14
	v_add_f32_e32 v39, v39, v40
	v_mul_f32_e32 v40, 0xbf52af12, v42
	v_add_f32_e32 v33, v44, v33
	v_add_f32_e32 v41, v48, v41
	;; [unrolled: 1-line block ×3, first 2 shown]
	v_sub_f32_e32 v38, v21, v23
	v_fmamk_f32 v44, v45, 0x3f116cb1, v40
	v_mul_f32_e32 v42, 0xbf29c268, v42
	v_fma_f32 v40, 0x3f116cb1, v45, -v40
	v_add_f32_e32 v48, v20, v22
	v_mul_f32_e32 v50, 0xbf6f5d39, v38
	v_add_f32_e32 v43, v44, v43
	v_fmamk_f32 v44, v45, 0xbf3f9e67, v42
	v_fma_f32 v42, 0xbf3f9e67, v45, -v42
	v_add_f32_e32 v30, v40, v30
	v_fmamk_f32 v40, v48, 0xbeb58ec6, v50
	v_mul_f32_e32 v45, 0x3f29c268, v38
	v_add_f32_e32 v44, v44, v49
	v_add_f32_e32 v9, v42, v9
	v_fma_f32 v42, 0xbeb58ec6, v48, -v50
	v_add_f32_e32 v10, v40, v10
	v_fmamk_f32 v40, v48, 0xbf3f9e67, v45
	v_mul_f32_e32 v49, 0x3eedf032, v38
	v_fma_f32 v45, 0xbf3f9e67, v48, -v45
	v_add_f32_e32 v11, v42, v11
	v_mul_f32_e32 v42, 0xbf7e222b, v38
	v_add_f32_e32 v31, v40, v31
	v_fmamk_f32 v40, v48, 0x3f62ad3f, v49
	v_add_f32_e32 v32, v45, v32
	v_fma_f32 v45, 0x3f62ad3f, v48, -v49
	v_fmamk_f32 v49, v48, 0x3df6dbef, v42
	v_fma_f32 v42, 0x3df6dbef, v48, -v42
	v_add_f32_e32 v39, v40, v39
	v_mul_f32_e32 v40, 0x3e750f2a, v38
	v_add_f32_e32 v33, v45, v33
	v_mul_f32_e32 v38, 0x3f52af12, v38
	v_add_f32_e32 v14, v42, v14
	v_sub_f32_e32 v42, v13, v19
	v_fmamk_f32 v45, v48, 0xbf788fa5, v40
	v_add_f32_e32 v41, v49, v41
	v_fma_f32 v40, 0xbf788fa5, v48, -v40
	v_add_f32_e32 v49, v12, v18
	v_mul_f32_e32 v50, 0xbf29c268, v42
	v_add_f32_e32 v43, v45, v43
	v_fmamk_f32 v45, v48, 0x3f116cb1, v38
	v_add_f32_e32 v8, v8, v24
	v_add_f32_e32 v30, v40, v30
	v_fma_f32 v38, 0x3f116cb1, v48, -v38
	v_fmamk_f32 v40, v49, 0xbf3f9e67, v50
	v_mul_f32_e32 v48, 0x3f7e222b, v42
	v_add_f32_e32 v44, v45, v44
	v_fma_f32 v45, 0xbf3f9e67, v49, -v50
	v_add_f32_e32 v8, v8, v16
	v_add_f32_e32 v9, v38, v9
	;; [unrolled: 1-line block ×3, first 2 shown]
	v_fmamk_f32 v38, v49, 0x3df6dbef, v48
	v_mul_f32_e32 v40, 0xbf52af12, v42
	v_add_f32_e32 v11, v45, v11
	v_fma_f32 v45, 0x3df6dbef, v49, -v48
	v_mul_f32_e32 v48, 0x3e750f2a, v42
	v_add_f32_e32 v8, v8, v20
	v_add_f32_e32 v31, v38, v31
	v_fmamk_f32 v38, v49, 0x3f116cb1, v40
	v_fma_f32 v40, 0x3f116cb1, v49, -v40
	v_add_f32_e32 v32, v45, v32
	v_fmamk_f32 v45, v49, 0xbf788fa5, v48
	v_add_f32_e32 v8, v8, v12
	v_fma_f32 v48, 0xbf788fa5, v49, -v48
	v_add_f32_e32 v38, v38, v39
	v_add_f32_e32 v39, v40, v33
	v_mul_f32_e32 v33, 0x3eedf032, v42
	v_add_f32_e32 v40, v45, v41
	v_sub_f32_e32 v41, v1, v3
	v_add_f32_e32 v8, v8, v0
	v_add_f32_e32 v14, v48, v14
	v_mul_f32_e32 v42, 0xbf6f5d39, v42
	v_fmamk_f32 v45, v49, 0x3f62ad3f, v33
	v_fma_f32 v33, 0x3f62ad3f, v49, -v33
	v_add_f32_e32 v48, v0, v2
	v_mul_f32_e32 v50, 0xbe750f2a, v41
	v_add_f32_e32 v8, v8, v2
	v_fmamk_f32 v51, v49, 0xbeb58ec6, v42
	v_add_f32_e32 v52, v33, v30
	v_fma_f32 v30, 0xbeb58ec6, v49, -v42
	v_fmamk_f32 v33, v48, 0xbf788fa5, v50
	v_add_f32_e32 v8, v8, v18
	v_add_f32_e32 v45, v45, v43
	v_mul_f32_e32 v42, 0x3eedf032, v41
	v_fma_f32 v43, 0xbf788fa5, v48, -v50
	v_add_f32_e32 v49, v30, v9
	v_add_f32_e32 v9, v33, v10
	v_mul_f32_e32 v10, 0xbf29c268, v41
	v_add_f32_e32 v8, v8, v22
	v_fmamk_f32 v33, v48, 0x3f62ad3f, v42
	v_add_f32_e32 v30, v43, v11
	v_fma_f32 v11, 0x3f62ad3f, v48, -v42
	v_mul_f32_e32 v50, 0x3f52af12, v41
	v_fmamk_f32 v43, v48, 0xbf3f9e67, v10
	v_fma_f32 v10, 0xbf3f9e67, v48, -v10
	v_add_f32_e32 v8, v8, v28
	v_add_f32_e32 v42, v33, v31
	;; [unrolled: 1-line block ×3, first 2 shown]
	v_fmamk_f32 v11, v48, 0x3f116cb1, v50
	v_mul_f32_e32 v31, 0xbf6f5d39, v41
	v_add_f32_e32 v32, v10, v39
	v_mul_f32_e32 v10, 0x3f7e222b, v41
	v_add_f32_e32 v8, v8, v36
	v_add_f32_e32 v44, v51, v44
	;; [unrolled: 1-line block ×4, first 2 shown]
	v_fma_f32 v11, 0x3f116cb1, v48, -v50
	v_fmamk_f32 v38, v48, 0xbeb58ec6, v31
	v_fma_f32 v31, 0xbeb58ec6, v48, -v31
	v_fmamk_f32 v39, v48, 0x3df6dbef, v10
	v_fma_f32 v48, 0x3df6dbef, v48, -v10
	v_add_f32_e32 v8, v8, v34
	v_add_f32_e32 v11, v11, v14
	;; [unrolled: 1-line block ×6, first 2 shown]
	v_cmp_gt_u32_e64 s1, 0x50, v46
	v_mad_u32_u24 v49, v46, 52, 0
	s_and_saveexec_b32 s0, s1
	s_cbranch_execz .LBB0_15
; %bb.14:
	ds_write2_b32 v49, v8, v9 offset1:1
	ds_write2_b32 v49, v42, v43 offset0:2 offset1:3
	ds_write2_b32 v49, v40, v41 offset0:4 offset1:5
	;; [unrolled: 1-line block ×5, first 2 shown]
	ds_write_b32 v49, v30 offset:48
.LBB0_15:
	s_or_b32 exec_lo, exec_lo, s0
	v_cmp_gt_u32_e64 s0, 0x41, v46
	v_lshl_add_u32 v48, v46, 2, 0
	s_waitcnt lgkmcnt(0)
	s_barrier
	buffer_gl0_inv
                                        ; implicit-def: $vgpr44
	s_and_saveexec_b32 s6, s0
	s_cbranch_execz .LBB0_17
; %bb.16:
	v_add_nc_u32_e32 v10, 0x400, v48
	v_add_nc_u32_e32 v14, 0x800, v48
	;; [unrolled: 1-line block ×3, first 2 shown]
	ds_read2_b32 v[8:9], v48 offset1:65
	ds_read2_b32 v[42:43], v48 offset0:130 offset1:195
	ds_read2_b32 v[40:41], v10 offset0:4 offset1:69
	;; [unrolled: 1-line block ×7, first 2 shown]
.LBB0_17:
	s_or_b32 exec_lo, exec_lo, s6
	v_add_f32_e32 v14, v15, v27
	v_sub_f32_e32 v26, v26, v34
	v_add_f32_e32 v27, v27, v35
	v_sub_f32_e32 v24, v24, v36
	v_add_f32_e32 v34, v25, v37
	v_add_f32_e32 v14, v14, v25
	v_mul_f32_e32 v36, 0xbf52af12, v26
	v_mul_f32_e32 v25, 0xbeedf032, v26
	;; [unrolled: 1-line block ×4, first 2 shown]
	v_add_f32_e32 v14, v14, v17
	v_fma_f32 v58, 0x3f116cb1, v27, -v36
	v_fmac_f32_e32 v36, 0x3f116cb1, v27
	v_mul_f32_e32 v52, 0xbf29c268, v26
	v_fma_f32 v63, 0xbeb58ec6, v34, -v54
	v_add_f32_e32 v14, v14, v21
	v_fmac_f32_e32 v54, 0xbeb58ec6, v34
	v_add_f32_e32 v36, v15, v36
	v_mul_f32_e32 v51, 0xbf6f5d39, v26
	v_mul_f32_e32 v26, 0xbe750f2a, v26
	v_add_f32_e32 v14, v14, v13
	v_mul_f32_e32 v53, 0xbf52af12, v24
	v_mul_f32_e32 v55, 0xbe750f2a, v24
	v_fma_f32 v57, 0x3f62ad3f, v27, -v25
	v_fmac_f32_e32 v25, 0x3f62ad3f, v27
	v_add_f32_e32 v14, v14, v1
	v_fma_f32 v59, 0x3df6dbef, v27, -v50
	v_fmac_f32_e32 v50, 0x3df6dbef, v27
	v_fma_f32 v61, 0xbf3f9e67, v27, -v52
	v_fmac_f32_e32 v52, 0xbf3f9e67, v27
	v_add_f32_e32 v14, v14, v3
	v_add_f32_e32 v36, v54, v36
	v_mul_f32_e32 v54, 0x3f7e222b, v24
	v_sub_f32_e32 v16, v16, v28
	v_mul_f32_e32 v56, 0x3f29c268, v24
	v_add_f32_e32 v14, v14, v19
	v_fma_f32 v60, 0xbeb58ec6, v27, -v51
	v_fmac_f32_e32 v51, 0xbeb58ec6, v27
	v_fma_f32 v62, 0xbf788fa5, v27, -v26
	v_fmac_f32_e32 v26, 0xbf788fa5, v27
	v_add_f32_e32 v14, v14, v23
	v_fma_f32 v27, 0x3f116cb1, v34, -v53
	v_fmac_f32_e32 v53, 0x3f116cb1, v34
	v_add_f32_e32 v57, v15, v57
	v_add_f32_e32 v25, v15, v25
	;; [unrolled: 1-line block ×5, first 2 shown]
	v_fma_f32 v28, 0x3df6dbef, v34, -v54
	v_mul_f32_e32 v24, 0x3eedf032, v24
	v_add_f32_e32 v14, v14, v37
	v_fmac_f32_e32 v54, 0x3df6dbef, v34
	v_add_f32_e32 v17, v17, v29
	v_mul_f32_e32 v29, 0xbf7e222b, v16
	v_add_f32_e32 v58, v15, v58
	v_add_f32_e32 v14, v14, v35
	v_fma_f32 v35, 0xbf788fa5, v34, -v55
	v_fmac_f32_e32 v55, 0xbf788fa5, v34
	v_add_f32_e32 v59, v15, v59
	v_add_f32_e32 v60, v15, v60
	;; [unrolled: 1-line block ×8, first 2 shown]
	v_fma_f32 v53, 0xbf3f9e67, v34, -v56
	v_fmac_f32_e32 v56, 0xbf3f9e67, v34
	v_add_f32_e32 v50, v55, v50
	v_fma_f32 v55, 0x3f62ad3f, v34, -v24
	v_fmac_f32_e32 v24, 0x3f62ad3f, v34
	v_add_f32_e32 v34, v54, v52
	v_fma_f32 v52, 0x3df6dbef, v17, -v29
	v_mul_f32_e32 v54, 0xbe750f2a, v16
	v_add_f32_e32 v27, v63, v58
	v_add_f32_e32 v15, v24, v15
	v_add_f32_e32 v35, v35, v59
	v_add_f32_e32 v24, v52, v26
	v_fma_f32 v26, 0xbf788fa5, v17, -v54
	v_mul_f32_e32 v52, 0x3f6f5d39, v16
	v_fmac_f32_e32 v29, 0x3df6dbef, v17
	v_sub_f32_e32 v20, v20, v22
	v_add_f32_e32 v28, v28, v61
	v_add_f32_e32 v26, v26, v27
	v_fma_f32 v27, 0xbeb58ec6, v17, -v52
	v_fmac_f32_e32 v54, 0xbf788fa5, v17
	v_add_f32_e32 v25, v29, v25
	v_mul_f32_e32 v29, 0x3eedf032, v16
	v_add_f32_e32 v21, v21, v23
	v_add_f32_e32 v27, v27, v35
	v_mul_f32_e32 v35, 0xbf52af12, v16
	v_mul_f32_e32 v16, 0xbf29c268, v16
	;; [unrolled: 1-line block ×3, first 2 shown]
	v_add_f32_e32 v36, v54, v36
	v_fmac_f32_e32 v52, 0xbeb58ec6, v17
	v_fma_f32 v22, 0x3f116cb1, v17, -v35
	v_fmac_f32_e32 v35, 0x3f116cb1, v17
	v_fma_f32 v54, 0x3f62ad3f, v17, -v29
	v_fmac_f32_e32 v29, 0x3f62ad3f, v17
	v_sub_f32_e32 v12, v12, v18
	v_add_f32_e32 v22, v22, v28
	v_fma_f32 v28, 0xbf3f9e67, v17, -v16
	v_fmac_f32_e32 v16, 0xbf3f9e67, v17
	v_add_f32_e32 v17, v35, v34
	v_fma_f32 v34, 0xbeb58ec6, v21, -v23
	v_mul_f32_e32 v35, 0x3f29c268, v20
	v_fmac_f32_e32 v23, 0xbeb58ec6, v21
	v_add_f32_e32 v15, v16, v15
	v_add_f32_e32 v13, v13, v19
	;; [unrolled: 1-line block ×3, first 2 shown]
	v_fma_f32 v24, 0xbf3f9e67, v21, -v35
	v_mul_f32_e32 v34, 0x3eedf032, v20
	v_fmac_f32_e32 v35, 0xbf3f9e67, v21
	v_add_f32_e32 v23, v23, v25
	v_mul_f32_e32 v25, 0xbf7e222b, v20
	v_add_f32_e32 v24, v24, v26
	v_fma_f32 v26, 0x3f62ad3f, v21, -v34
	v_mul_f32_e32 v19, 0xbf29c268, v12
	v_add_f32_e32 v35, v35, v36
	v_fmac_f32_e32 v34, 0x3f62ad3f, v21
	v_fma_f32 v36, 0x3df6dbef, v21, -v25
	v_add_f32_e32 v26, v26, v27
	v_mul_f32_e32 v27, 0x3e750f2a, v20
	v_mul_f32_e32 v20, 0x3f52af12, v20
	v_fmac_f32_e32 v25, 0x3df6dbef, v21
	v_add_f32_e32 v51, v56, v51
	v_add_f32_e32 v37, v55, v37
	v_fma_f32 v18, 0xbf788fa5, v21, -v27
	v_fmac_f32_e32 v27, 0xbf788fa5, v21
	v_add_f32_e32 v50, v52, v50
	v_add_f32_e32 v29, v29, v51
	;; [unrolled: 1-line block ×4, first 2 shown]
	v_fma_f32 v22, 0x3f116cb1, v21, -v20
	v_add_f32_e32 v17, v27, v17
	v_fmac_f32_e32 v20, 0x3f116cb1, v21
	v_fma_f32 v21, 0xbf3f9e67, v13, -v19
	v_mul_f32_e32 v27, 0x3f7e222b, v12
	v_fmac_f32_e32 v19, 0xbf3f9e67, v13
	v_add_f32_e32 v34, v34, v50
	v_add_f32_e32 v15, v20, v15
	;; [unrolled: 1-line block ×3, first 2 shown]
	v_fma_f32 v20, 0x3df6dbef, v13, -v27
	v_mul_f32_e32 v21, 0xbf52af12, v12
	v_add_f32_e32 v19, v19, v23
	v_mul_f32_e32 v23, 0x3e750f2a, v12
	v_sub_f32_e32 v0, v0, v2
	v_add_f32_e32 v20, v20, v24
	v_fma_f32 v24, 0x3f116cb1, v13, -v21
	v_fmac_f32_e32 v21, 0x3f116cb1, v13
	v_add_f32_e32 v25, v25, v29
	v_add_f32_e32 v22, v22, v28
	v_fma_f32 v28, 0xbf788fa5, v13, -v23
	v_fmac_f32_e32 v23, 0xbf788fa5, v13
	v_add_f32_e32 v24, v24, v26
	v_add_f32_e32 v26, v21, v34
	v_mul_f32_e32 v21, 0x3eedf032, v12
	v_mul_f32_e32 v2, 0xbf6f5d39, v12
	v_add_f32_e32 v1, v1, v3
	v_mul_f32_e32 v3, 0xbe750f2a, v0
	v_add_f32_e32 v53, v53, v60
	v_fmac_f32_e32 v27, 0x3df6dbef, v13
	v_add_f32_e32 v23, v23, v25
	v_fma_f32 v12, 0x3f62ad3f, v13, -v21
	v_fmac_f32_e32 v21, 0x3f62ad3f, v13
	v_fma_f32 v25, 0xbeb58ec6, v13, -v2
	v_fmac_f32_e32 v2, 0xbeb58ec6, v13
	v_fma_f32 v13, 0xbf788fa5, v1, -v3
	v_add_f32_e32 v52, v54, v53
	v_add_f32_e32 v12, v12, v18
	v_mul_f32_e32 v18, 0x3eedf032, v0
	v_fmac_f32_e32 v3, 0xbf788fa5, v1
	v_add_f32_e32 v2, v2, v15
	v_add_f32_e32 v15, v13, v16
	v_mul_f32_e32 v13, 0xbf29c268, v0
	v_add_f32_e32 v36, v36, v52
	v_add_f32_e32 v27, v27, v35
	;; [unrolled: 1-line block ×4, first 2 shown]
	v_fma_f32 v21, 0x3f62ad3f, v1, -v18
	v_add_f32_e32 v16, v3, v19
	v_fmac_f32_e32 v18, 0x3f62ad3f, v1
	v_mul_f32_e32 v3, 0x3f52af12, v0
	v_fma_f32 v22, 0xbf3f9e67, v1, -v13
	v_add_f32_e32 v28, v28, v36
	v_add_f32_e32 v20, v21, v20
	v_fmac_f32_e32 v13, 0xbf3f9e67, v1
	v_add_f32_e32 v19, v18, v27
	v_fma_f32 v27, 0x3f116cb1, v1, -v3
	v_add_f32_e32 v21, v22, v24
	v_mul_f32_e32 v24, 0xbf6f5d39, v0
	v_mul_f32_e32 v0, 0x3f7e222b, v0
	v_add_f32_e32 v18, v13, v26
	v_add_f32_e32 v22, v27, v28
	v_fmac_f32_e32 v3, 0x3f116cb1, v1
	v_fma_f32 v26, 0xbeb58ec6, v1, -v24
	v_fmac_f32_e32 v24, 0xbeb58ec6, v1
	v_fma_f32 v27, 0x3df6dbef, v1, -v0
	v_fmac_f32_e32 v0, 0x3df6dbef, v1
	v_add_f32_e32 v13, v3, v23
	v_add_f32_e32 v23, v26, v12
	;; [unrolled: 1-line block ×5, first 2 shown]
	s_waitcnt lgkmcnt(0)
	s_barrier
	buffer_gl0_inv
	s_and_saveexec_b32 s6, s1
	s_cbranch_execz .LBB0_19
; %bb.18:
	ds_write2_b32 v49, v14, v15 offset1:1
	ds_write2_b32 v49, v20, v21 offset0:2 offset1:3
	ds_write2_b32 v49, v22, v23 offset0:4 offset1:5
	;; [unrolled: 1-line block ×5, first 2 shown]
	ds_write_b32 v49, v16 offset:48
.LBB0_19:
	s_or_b32 exec_lo, exec_lo, s6
	s_waitcnt lgkmcnt(0)
	s_barrier
	buffer_gl0_inv
                                        ; implicit-def: $vgpr26
	s_and_saveexec_b32 s1, s0
	s_cbranch_execz .LBB0_21
; %bb.20:
	v_add_nc_u32_e32 v0, 0x400, v48
	v_add_nc_u32_e32 v1, 0x800, v48
	;; [unrolled: 1-line block ×3, first 2 shown]
	ds_read2_b32 v[14:15], v48 offset1:65
	ds_read2_b32 v[20:21], v48 offset0:130 offset1:195
	ds_read2_b32 v[22:23], v0 offset0:4 offset1:69
	;; [unrolled: 1-line block ×7, first 2 shown]
.LBB0_21:
	s_or_b32 exec_lo, exec_lo, s1
	v_and_b32_e32 v0, 0xff, v46
	v_mov_b32_e32 v1, 15
	v_mul_lo_u16 v0, 0x4f, v0
	v_lshrrev_b16 v29, 10, v0
	v_mul_lo_u16 v0, v29, 13
	v_sub_nc_u16 v28, v46, v0
	v_mul_u32_u24_sdwa v0, v28, v1 dst_sel:DWORD dst_unused:UNUSED_PAD src0_sel:BYTE_0 src1_sel:DWORD
	v_lshlrev_b32_e32 v49, 3, v0
	s_clause 0x7
	global_load_dwordx4 v[34:37], v49, s[12:13]
	global_load_dwordx4 v[50:53], v49, s[12:13] offset:16
	global_load_dwordx4 v[54:57], v49, s[12:13] offset:32
	;; [unrolled: 1-line block ×6, first 2 shown]
	global_load_dwordx2 v[70:71], v49, s[12:13] offset:112
	s_waitcnt vmcnt(0) lgkmcnt(0)
	s_barrier
	buffer_gl0_inv
	v_mul_f32_e32 v72, v15, v35
	v_mul_f32_e32 v35, v9, v35
	;; [unrolled: 1-line block ×10, first 2 shown]
	v_fmac_f32_e32 v72, v9, v34
	v_fma_f32 v9, v15, v34, -v35
	v_mul_f32_e32 v34, v38, v57
	v_mul_f32_e32 v76, v24, v57
	v_fmac_f32_e32 v73, v42, v36
	v_fma_f32 v20, v20, v36, -v37
	v_mul_f32_e32 v35, v25, v1
	v_mul_f32_e32 v1, v39, v1
	v_mul_f32_e32 v36, v13, v59
	v_fmac_f32_e32 v74, v43, v50
	v_mul_f32_e32 v37, v11, v59
	v_mul_f32_e32 v42, v18, v61
	v_fma_f32 v21, v21, v50, -v51
	v_mul_f32_e32 v43, v32, v61
	v_mul_f32_e32 v50, v19, v63
	v_fmac_f32_e32 v49, v40, v52
	v_fma_f32 v15, v22, v52, -v53
	v_mul_f32_e32 v22, v33, v63
	v_mul_f32_e32 v52, v17, v67
	v_fmac_f32_e32 v75, v41, v54
	v_mul_f32_e32 v41, v31, v67
	v_mul_f32_e32 v53, v26, v69
	v_fma_f32 v23, v23, v54, -v55
	v_mul_f32_e32 v54, v44, v69
	v_mul_f32_e32 v55, v27, v71
	v_fma_f32 v24, v24, v56, -v34
	v_mul_f32_e32 v34, v45, v71
	v_mul_f32_e32 v40, v16, v65
	;; [unrolled: 1-line block ×3, first 2 shown]
	v_fmac_f32_e32 v76, v38, v56
	v_fmac_f32_e32 v35, v39, v0
	v_fma_f32 v1, v25, v0, -v1
	v_fmac_f32_e32 v36, v11, v58
	v_fma_f32 v0, v13, v58, -v37
	;; [unrolled: 2-line block ×8, first 2 shown]
	v_sub_f32_e32 v26, v73, v42
	v_sub_f32_e32 v11, v20, v11
	;; [unrolled: 1-line block ×14, first 2 shown]
	v_fma_f32 v16, v20, 2.0, -v11
	v_fma_f32 v20, v76, 2.0, -v27
	;; [unrolled: 1-line block ×11, first 2 shown]
	v_add_f32_e32 v22, v26, v22
	v_sub_f32_e32 v27, v11, v27
	v_add_f32_e32 v35, v30, v19
	v_sub_f32_e32 v40, v31, v32
	;; [unrolled: 2-line block ×3, first 2 shown]
	v_fma_f32 v0, v73, 2.0, -v26
	v_fma_f32 v25, v26, 2.0, -v22
	;; [unrolled: 1-line block ×3, first 2 shown]
	v_sub_f32_e32 v26, v36, v37
	v_sub_f32_e32 v37, v9, v23
	v_fma_f32 v43, v30, 2.0, -v35
	v_fma_f32 v44, v31, 2.0, -v40
	v_sub_f32_e32 v30, v38, v21
	v_sub_f32_e32 v31, v39, v1
	v_fma_f32 v45, v33, 2.0, -v41
	v_fma_f32 v34, v34, 2.0, -v42
	v_sub_f32_e32 v18, v0, v20
	v_sub_f32_e32 v19, v16, v24
	v_mul_f32_e32 v20, 0x3f3504f3, v22
	v_mul_f32_e32 v23, 0x3f3504f3, v27
	v_fmamk_f32 v21, v41, 0x3f3504f3, v35
	v_fmamk_f32 v24, v42, 0x3f3504f3, v40
	v_fma_f32 v1, v36, 2.0, -v26
	v_fma_f32 v32, v9, 2.0, -v37
	;; [unrolled: 1-line block ×3, first 2 shown]
	v_mul_f32_e32 v27, 0x3f3504f3, v25
	v_mul_f32_e32 v33, 0x3f3504f3, v11
	v_fmamk_f32 v22, v45, 0xbf3504f3, v43
	v_fmamk_f32 v25, v34, 0xbf3504f3, v44
	v_add_f32_e32 v11, v26, v31
	v_sub_f32_e32 v50, v37, v30
	v_fma_f32 v36, v39, 2.0, -v31
	v_fmac_f32_e32 v21, 0x3f3504f3, v42
	v_fmac_f32_e32 v24, 0xbf3504f3, v41
	v_sub_f32_e32 v31, v1, v9
	v_fmac_f32_e32 v22, 0x3f3504f3, v34
	v_fmac_f32_e32 v25, 0xbf3504f3, v45
	v_fma_f32 v9, v26, 2.0, -v11
	v_fma_f32 v38, v37, 2.0, -v50
	v_sub_f32_e32 v39, v32, v36
	v_fma_f32 v30, v35, 2.0, -v21
	v_fma_f32 v36, v40, 2.0, -v24
	v_mul_f32_e32 v37, 0x3f3504f3, v11
	v_fma_f32 v26, v43, 2.0, -v22
	v_fma_f32 v34, v44, 2.0, -v25
	v_mul_f32_e32 v35, 0x3f3504f3, v9
	v_mul_f32_e32 v38, 0x3f3504f3, v38
	;; [unrolled: 1-line block ×3, first 2 shown]
	s_and_saveexec_b32 s1, s0
	s_cbranch_execz .LBB0_23
; %bb.22:
	v_mul_f32_e32 v9, v12, v3
	v_fma_f32 v11, v49, 2.0, -v13
	v_fma_f32 v0, v0, 2.0, -v18
	v_mov_b32_e32 v41, 0xd0
	v_fma_f32 v1, v1, 2.0, -v31
	v_fmac_f32_e32 v9, v10, v2
	v_mul_u32_u24_sdwa v41, v29, v41 dst_sel:DWORD dst_unused:UNUSED_PAD src0_sel:WORD_0 src1_sel:DWORD
	v_sub_f32_e32 v9, v8, v9
	v_or_b32_sdwa v41, v41, v28 dst_sel:DWORD dst_unused:UNUSED_PAD src0_sel:DWORD src1_sel:BYTE_0
	v_add_f32_e32 v42, v9, v17
	v_fma_f32 v8, v8, 2.0, -v9
	v_lshl_add_u32 v41, v41, 2, 0
	v_fma_f32 v9, v9, 2.0, -v42
	v_add_f32_e32 v43, v42, v20
	v_sub_f32_e32 v11, v8, v11
	v_sub_f32_e32 v45, v9, v27
	v_add_f32_e32 v43, v23, v43
	v_add_f32_e32 v44, v11, v19
	v_fma_f32 v8, v8, 2.0, -v11
	v_add_f32_e32 v45, v33, v45
	v_fma_f32 v42, v42, 2.0, -v43
	v_fma_f32 v11, v11, 2.0, -v44
	v_sub_f32_e32 v0, v8, v0
	v_fmamk_f32 v49, v21, 0x3f6c835e, v43
	v_fma_f32 v9, v9, 2.0, -v45
	v_add_f32_e32 v50, v44, v37
	v_fmamk_f32 v53, v30, 0xbec3ef15, v42
	v_sub_f32_e32 v54, v11, v35
	v_fmamk_f32 v51, v22, 0x3ec3ef15, v45
	v_fma_f32 v8, v8, 2.0, -v0
	v_fmamk_f32 v55, v26, 0xbf6c835e, v9
	v_fmac_f32_e32 v49, 0x3ec3ef15, v24
	v_add_f32_e32 v50, v40, v50
	v_fmac_f32_e32 v53, 0x3f6c835e, v36
	v_add_f32_e32 v54, v38, v54
	v_add_f32_e32 v52, v0, v39
	v_fmac_f32_e32 v51, 0x3f6c835e, v25
	v_sub_f32_e32 v1, v8, v1
	v_fmac_f32_e32 v55, 0x3ec3ef15, v34
	v_fma_f32 v43, v43, 2.0, -v49
	v_fma_f32 v44, v44, 2.0, -v50
	;; [unrolled: 1-line block ×8, first 2 shown]
	ds_write2_b32 v41, v44, v43 offset0:78 offset1:91
	ds_write2_b32 v41, v54, v53 offset0:130 offset1:143
	;; [unrolled: 1-line block ×6, first 2 shown]
	ds_write2_b32 v41, v8, v9 offset1:13
	ds_write2_b32 v41, v50, v49 offset0:182 offset1:195
.LBB0_23:
	s_or_b32 exec_lo, exec_lo, s1
	v_add_nc_u32_e32 v8, 0x600, v48
	s_waitcnt lgkmcnt(0)
	s_barrier
	buffer_gl0_inv
	ds_read2_b32 v[0:1], v48 offset1:208
	ds_read2_b32 v[8:9], v8 offset0:32 offset1:240
	ds_read_b32 v11, v48 offset:3328
	s_waitcnt lgkmcnt(0)
	s_barrier
	buffer_gl0_inv
	s_and_saveexec_b32 s1, s0
	s_cbranch_execz .LBB0_25
; %bb.24:
	v_mul_f32_e32 v3, v10, v3
	v_mov_b32_e32 v10, 0xd0
	v_fma_f32 v2, v12, v2, -v3
	v_fma_f32 v3, v15, 2.0, -v17
	v_mul_u32_u24_sdwa v10, v29, v10 dst_sel:DWORD dst_unused:UNUSED_PAD src0_sel:WORD_0 src1_sel:DWORD
	v_fma_f32 v15, v32, 2.0, -v39
	v_sub_f32_e32 v2, v14, v2
	v_or_b32_sdwa v10, v10, v28 dst_sel:DWORD dst_unused:UNUSED_PAD src0_sel:DWORD src1_sel:BYTE_0
	v_sub_f32_e32 v13, v2, v13
	v_fma_f32 v12, v14, 2.0, -v2
	v_fma_f32 v14, v16, 2.0, -v19
	v_lshl_add_u32 v10, v10, 2, 0
	v_fma_f32 v2, v2, 2.0, -v13
	v_sub_f32_e32 v3, v12, v3
	v_add_f32_e32 v16, v13, v23
	v_sub_f32_e32 v17, v2, v33
	v_sub_f32_e32 v18, v3, v18
	;; [unrolled: 1-line block ×3, first 2 shown]
	v_fma_f32 v12, v12, 2.0, -v3
	v_sub_f32_e32 v17, v17, v27
	v_fma_f32 v3, v3, 2.0, -v18
	v_fma_f32 v13, v13, 2.0, -v16
	v_sub_f32_e32 v14, v12, v14
	v_fmamk_f32 v20, v24, 0x3f6c835e, v16
	v_fma_f32 v2, v2, 2.0, -v17
	v_add_f32_e32 v19, v18, v40
	v_sub_f32_e32 v23, v3, v38
	v_fmamk_f32 v24, v36, 0xbec3ef15, v13
	v_fmamk_f32 v25, v25, 0x3ec3ef15, v17
	v_fma_f32 v12, v12, 2.0, -v14
	v_fmac_f32_e32 v20, 0xbec3ef15, v21
	v_fmamk_f32 v21, v34, 0xbf6c835e, v2
	v_sub_f32_e32 v19, v19, v37
	v_sub_f32_e32 v23, v23, v35
	v_fmac_f32_e32 v24, 0xbf6c835e, v30
	v_sub_f32_e32 v27, v14, v31
	v_fmac_f32_e32 v25, 0xbf6c835e, v22
	;; [unrolled: 2-line block ×3, first 2 shown]
	v_fma_f32 v18, v18, 2.0, -v19
	v_fma_f32 v16, v16, 2.0, -v20
	;; [unrolled: 1-line block ×8, first 2 shown]
	ds_write2_b32 v10, v18, v16 offset0:78 offset1:91
	ds_write2_b32 v10, v23, v24 offset0:130 offset1:143
	;; [unrolled: 1-line block ×6, first 2 shown]
	ds_write2_b32 v10, v12, v2 offset1:13
	ds_write2_b32 v10, v19, v20 offset0:182 offset1:195
.LBB0_25:
	s_or_b32 exec_lo, exec_lo, s1
	s_waitcnt lgkmcnt(0)
	s_barrier
	buffer_gl0_inv
	s_and_saveexec_b32 s0, vcc_lo
	s_cbranch_execz .LBB0_27
; %bb.26:
	v_lshlrev_b32_e32 v2, 2, v46
	v_mov_b32_e32 v3, 0
	v_mul_lo_u32 v10, s5, v6
	v_mul_lo_u32 v28, s4, v7
	v_mad_u64_u32 v[20:21], null, s2, v47, 0
	v_lshlrev_b64 v[2:3], 3, v[2:3]
	v_add_nc_u32_e32 v34, 0xd0, v47
	v_add_nc_u32_e32 v35, 0x1a0, v47
	;; [unrolled: 1-line block ×4, first 2 shown]
	v_lshlrev_b64 v[4:5], 3, v[4:5]
	v_add_co_u32 v2, vcc_lo, s12, v2
	v_add_co_ci_u32_e32 v3, vcc_lo, s13, v3, vcc_lo
	v_mad_u64_u32 v[22:23], null, s2, v34, 0
	s_clause 0x1
	global_load_dwordx4 v[12:15], v[2:3], off offset:1560
	global_load_dwordx4 v[16:19], v[2:3], off offset:1576
	v_mad_u64_u32 v[2:3], null, s4, v6, 0
	v_mad_u64_u32 v[24:25], null, s2, v35, 0
	;; [unrolled: 1-line block ×3, first 2 shown]
	v_add_nc_u32_e32 v30, 0x600, v48
	ds_read2_b32 v[6:7], v48 offset1:208
	v_add3_u32 v3, v3, v28, v10
	v_mov_b32_e32 v10, v21
	v_mad_u64_u32 v[28:29], null, s2, v37, 0
	v_mov_b32_e32 v21, v25
	v_lshlrev_b64 v[2:3], 3, v[2:3]
	v_mad_u64_u32 v[32:33], null, s3, v47, v[10:11]
	v_mov_b32_e32 v10, v23
	v_mov_b32_e32 v23, v27
	;; [unrolled: 1-line block ×3, first 2 shown]
	v_add_co_u32 v2, vcc_lo, s10, v2
	v_mad_u64_u32 v[33:34], null, s3, v34, v[10:11]
	v_mad_u64_u32 v[34:35], null, s3, v35, v[21:22]
	v_add_co_ci_u32_e32 v3, vcc_lo, s11, v3, vcc_lo
	v_mov_b32_e32 v21, v32
	v_mad_u64_u32 v[35:36], null, s3, v36, v[23:24]
	ds_read2_b32 v[30:31], v30 offset0:32 offset1:240
	v_add_co_u32 v10, vcc_lo, v2, v4
	v_mov_b32_e32 v23, v33
	ds_read_b32 v38, v48 offset:3328
	v_mad_u64_u32 v[36:37], null, s3, v37, v[25:26]
	v_add_co_ci_u32_e32 v32, vcc_lo, v3, v5, vcc_lo
	v_lshlrev_b64 v[2:3], 3, v[20:21]
	v_mov_b32_e32 v25, v34
	v_lshlrev_b64 v[4:5], 3, v[22:23]
	v_mov_b32_e32 v27, v35
	v_mov_b32_e32 v29, v36
	v_lshlrev_b64 v[20:21], 3, v[24:25]
	v_add_co_u32 v2, vcc_lo, v10, v2
	v_add_co_ci_u32_e32 v3, vcc_lo, v32, v3, vcc_lo
	v_lshlrev_b64 v[22:23], 3, v[26:27]
	v_add_co_u32 v4, vcc_lo, v10, v4
	v_add_co_ci_u32_e32 v5, vcc_lo, v32, v5, vcc_lo
	;; [unrolled: 3-line block ×3, first 2 shown]
	v_add_co_u32 v22, vcc_lo, v10, v22
	v_add_co_ci_u32_e32 v23, vcc_lo, v32, v23, vcc_lo
	v_add_co_u32 v24, vcc_lo, v10, v24
	v_add_co_ci_u32_e32 v25, vcc_lo, v32, v25, vcc_lo
	s_waitcnt vmcnt(1)
	v_mul_f32_e32 v10, v1, v13
	v_mul_f32_e32 v26, v8, v15
	s_waitcnt vmcnt(0)
	v_mul_f32_e32 v27, v11, v19
	v_mul_f32_e32 v28, v9, v17
	s_waitcnt lgkmcnt(1)
	v_mul_f32_e32 v15, v30, v15
	v_mul_f32_e32 v17, v31, v17
	v_mul_f32_e32 v13, v7, v13
	s_waitcnt lgkmcnt(0)
	v_mul_f32_e32 v19, v38, v19
	v_fma_f32 v7, v7, v12, -v10
	v_fma_f32 v10, v30, v14, -v26
	;; [unrolled: 1-line block ×4, first 2 shown]
	v_fmac_f32_e32 v15, v8, v14
	v_fmac_f32_e32 v17, v9, v16
	;; [unrolled: 1-line block ×4, first 2 shown]
	v_sub_f32_e32 v1, v7, v10
	v_sub_f32_e32 v8, v26, v27
	v_add_f32_e32 v9, v10, v27
	v_add_f32_e32 v18, v15, v17
	;; [unrolled: 1-line block ×4, first 2 shown]
	v_sub_f32_e32 v14, v13, v19
	v_sub_f32_e32 v11, v13, v15
	;; [unrolled: 1-line block ×5, first 2 shown]
	v_add_f32_e32 v36, v7, v6
	v_add_f32_e32 v13, v0, v13
	v_sub_f32_e32 v28, v7, v26
	v_add_f32_e32 v37, v1, v8
	v_fma_f32 v8, -0.5, v9, v6
	v_fma_f32 v7, -0.5, v18, v0
	v_sub_f32_e32 v16, v15, v17
	v_sub_f32_e32 v12, v19, v17
	;; [unrolled: 1-line block ×3, first 2 shown]
	v_fma_f32 v1, -0.5, v32, v6
	v_fma_f32 v0, -0.5, v35, v0
	v_add_f32_e32 v18, v30, v31
	v_add_f32_e32 v30, v10, v36
	;; [unrolled: 1-line block ×3, first 2 shown]
	v_fmamk_f32 v10, v14, 0xbf737871, v8
	v_fmamk_f32 v9, v28, 0x3f737871, v7
	v_fmac_f32_e32 v8, 0x3f737871, v14
	v_fmac_f32_e32 v7, 0xbf737871, v28
	v_sub_f32_e32 v34, v17, v19
	v_add_f32_e32 v38, v11, v12
	v_fmamk_f32 v12, v16, 0x3f737871, v1
	v_fmamk_f32 v11, v29, 0xbf737871, v0
	v_fmac_f32_e32 v1, 0xbf737871, v16
	v_fmac_f32_e32 v0, 0x3f737871, v29
	v_add_f32_e32 v15, v27, v30
	v_add_f32_e32 v13, v13, v17
	v_fmac_f32_e32 v8, 0x3f167918, v16
	v_fmac_f32_e32 v7, 0xbf167918, v29
	v_add_f32_e32 v6, v33, v34
	v_fmac_f32_e32 v1, 0x3f167918, v14
	v_fmac_f32_e32 v0, 0xbf167918, v28
	;; [unrolled: 1-line block ×6, first 2 shown]
	v_add_f32_e32 v14, v26, v15
	v_add_f32_e32 v13, v19, v13
	v_fmac_f32_e32 v8, 0x3e9e377a, v37
	v_fmac_f32_e32 v7, 0x3e9e377a, v38
	v_fmac_f32_e32 v1, 0x3e9e377a, v18
	v_fmac_f32_e32 v0, 0x3e9e377a, v6
	v_fmac_f32_e32 v12, 0x3e9e377a, v18
	v_fmac_f32_e32 v11, 0x3e9e377a, v6
	v_fmac_f32_e32 v10, 0x3e9e377a, v37
	v_fmac_f32_e32 v9, 0x3e9e377a, v38
	global_store_dwordx2 v[2:3], v[13:14], off
	global_store_dwordx2 v[4:5], v[7:8], off
	;; [unrolled: 1-line block ×5, first 2 shown]
.LBB0_27:
	s_endpgm
	.section	.rodata,"a",@progbits
	.p2align	6, 0x0
	.amdhsa_kernel fft_rtc_back_len1040_factors_13_16_5_wgs_208_tpt_208_halfLds_sp_op_CI_CI_sbrr_dirReg
		.amdhsa_group_segment_fixed_size 0
		.amdhsa_private_segment_fixed_size 0
		.amdhsa_kernarg_size 104
		.amdhsa_user_sgpr_count 6
		.amdhsa_user_sgpr_private_segment_buffer 1
		.amdhsa_user_sgpr_dispatch_ptr 0
		.amdhsa_user_sgpr_queue_ptr 0
		.amdhsa_user_sgpr_kernarg_segment_ptr 1
		.amdhsa_user_sgpr_dispatch_id 0
		.amdhsa_user_sgpr_flat_scratch_init 0
		.amdhsa_user_sgpr_private_segment_size 0
		.amdhsa_wavefront_size32 1
		.amdhsa_uses_dynamic_stack 0
		.amdhsa_system_sgpr_private_segment_wavefront_offset 0
		.amdhsa_system_sgpr_workgroup_id_x 1
		.amdhsa_system_sgpr_workgroup_id_y 0
		.amdhsa_system_sgpr_workgroup_id_z 0
		.amdhsa_system_sgpr_workgroup_info 0
		.amdhsa_system_vgpr_workitem_id 0
		.amdhsa_next_free_vgpr 77
		.amdhsa_next_free_sgpr 31
		.amdhsa_reserve_vcc 1
		.amdhsa_reserve_flat_scratch 0
		.amdhsa_float_round_mode_32 0
		.amdhsa_float_round_mode_16_64 0
		.amdhsa_float_denorm_mode_32 3
		.amdhsa_float_denorm_mode_16_64 3
		.amdhsa_dx10_clamp 1
		.amdhsa_ieee_mode 1
		.amdhsa_fp16_overflow 0
		.amdhsa_workgroup_processor_mode 1
		.amdhsa_memory_ordered 1
		.amdhsa_forward_progress 0
		.amdhsa_shared_vgpr_count 0
		.amdhsa_exception_fp_ieee_invalid_op 0
		.amdhsa_exception_fp_denorm_src 0
		.amdhsa_exception_fp_ieee_div_zero 0
		.amdhsa_exception_fp_ieee_overflow 0
		.amdhsa_exception_fp_ieee_underflow 0
		.amdhsa_exception_fp_ieee_inexact 0
		.amdhsa_exception_int_div_zero 0
	.end_amdhsa_kernel
	.text
.Lfunc_end0:
	.size	fft_rtc_back_len1040_factors_13_16_5_wgs_208_tpt_208_halfLds_sp_op_CI_CI_sbrr_dirReg, .Lfunc_end0-fft_rtc_back_len1040_factors_13_16_5_wgs_208_tpt_208_halfLds_sp_op_CI_CI_sbrr_dirReg
                                        ; -- End function
	.section	.AMDGPU.csdata,"",@progbits
; Kernel info:
; codeLenInByte = 8024
; NumSgprs: 33
; NumVgprs: 77
; ScratchSize: 0
; MemoryBound: 0
; FloatMode: 240
; IeeeMode: 1
; LDSByteSize: 0 bytes/workgroup (compile time only)
; SGPRBlocks: 4
; VGPRBlocks: 9
; NumSGPRsForWavesPerEU: 33
; NumVGPRsForWavesPerEU: 77
; Occupancy: 12
; WaveLimiterHint : 1
; COMPUTE_PGM_RSRC2:SCRATCH_EN: 0
; COMPUTE_PGM_RSRC2:USER_SGPR: 6
; COMPUTE_PGM_RSRC2:TRAP_HANDLER: 0
; COMPUTE_PGM_RSRC2:TGID_X_EN: 1
; COMPUTE_PGM_RSRC2:TGID_Y_EN: 0
; COMPUTE_PGM_RSRC2:TGID_Z_EN: 0
; COMPUTE_PGM_RSRC2:TIDIG_COMP_CNT: 0
	.text
	.p2alignl 6, 3214868480
	.fill 48, 4, 3214868480
	.type	__hip_cuid_782c14b47b938715,@object ; @__hip_cuid_782c14b47b938715
	.section	.bss,"aw",@nobits
	.globl	__hip_cuid_782c14b47b938715
__hip_cuid_782c14b47b938715:
	.byte	0                               ; 0x0
	.size	__hip_cuid_782c14b47b938715, 1

	.ident	"AMD clang version 19.0.0git (https://github.com/RadeonOpenCompute/llvm-project roc-6.4.0 25133 c7fe45cf4b819c5991fe208aaa96edf142730f1d)"
	.section	".note.GNU-stack","",@progbits
	.addrsig
	.addrsig_sym __hip_cuid_782c14b47b938715
	.amdgpu_metadata
---
amdhsa.kernels:
  - .args:
      - .actual_access:  read_only
        .address_space:  global
        .offset:         0
        .size:           8
        .value_kind:     global_buffer
      - .offset:         8
        .size:           8
        .value_kind:     by_value
      - .actual_access:  read_only
        .address_space:  global
        .offset:         16
        .size:           8
        .value_kind:     global_buffer
      - .actual_access:  read_only
        .address_space:  global
        .offset:         24
        .size:           8
        .value_kind:     global_buffer
      - .actual_access:  read_only
        .address_space:  global
        .offset:         32
        .size:           8
        .value_kind:     global_buffer
      - .offset:         40
        .size:           8
        .value_kind:     by_value
      - .actual_access:  read_only
        .address_space:  global
        .offset:         48
        .size:           8
        .value_kind:     global_buffer
      - .actual_access:  read_only
        .address_space:  global
        .offset:         56
        .size:           8
        .value_kind:     global_buffer
      - .offset:         64
        .size:           4
        .value_kind:     by_value
      - .actual_access:  read_only
        .address_space:  global
        .offset:         72
        .size:           8
        .value_kind:     global_buffer
      - .actual_access:  read_only
        .address_space:  global
        .offset:         80
        .size:           8
        .value_kind:     global_buffer
      - .actual_access:  read_only
        .address_space:  global
        .offset:         88
        .size:           8
        .value_kind:     global_buffer
      - .actual_access:  write_only
        .address_space:  global
        .offset:         96
        .size:           8
        .value_kind:     global_buffer
    .group_segment_fixed_size: 0
    .kernarg_segment_align: 8
    .kernarg_segment_size: 104
    .language:       OpenCL C
    .language_version:
      - 2
      - 0
    .max_flat_workgroup_size: 208
    .name:           fft_rtc_back_len1040_factors_13_16_5_wgs_208_tpt_208_halfLds_sp_op_CI_CI_sbrr_dirReg
    .private_segment_fixed_size: 0
    .sgpr_count:     33
    .sgpr_spill_count: 0
    .symbol:         fft_rtc_back_len1040_factors_13_16_5_wgs_208_tpt_208_halfLds_sp_op_CI_CI_sbrr_dirReg.kd
    .uniform_work_group_size: 1
    .uses_dynamic_stack: false
    .vgpr_count:     77
    .vgpr_spill_count: 0
    .wavefront_size: 32
    .workgroup_processor_mode: 1
amdhsa.target:   amdgcn-amd-amdhsa--gfx1030
amdhsa.version:
  - 1
  - 2
...

	.end_amdgpu_metadata
